;; amdgpu-corpus repo=ROCm/rocFFT kind=compiled arch=gfx906 opt=O3
	.text
	.amdgcn_target "amdgcn-amd-amdhsa--gfx906"
	.amdhsa_code_object_version 6
	.protected	fft_rtc_back_len243_factors_3_3_3_3_3_wgs_216_tpt_27_half_op_CI_CI_sbrc_aligned_dirReg ; -- Begin function fft_rtc_back_len243_factors_3_3_3_3_3_wgs_216_tpt_27_half_op_CI_CI_sbrc_aligned_dirReg
	.globl	fft_rtc_back_len243_factors_3_3_3_3_3_wgs_216_tpt_27_half_op_CI_CI_sbrc_aligned_dirReg
	.p2align	8
	.type	fft_rtc_back_len243_factors_3_3_3_3_3_wgs_216_tpt_27_half_op_CI_CI_sbrc_aligned_dirReg,@function
fft_rtc_back_len243_factors_3_3_3_3_3_wgs_216_tpt_27_half_op_CI_CI_sbrc_aligned_dirReg: ; @fft_rtc_back_len243_factors_3_3_3_3_3_wgs_216_tpt_27_half_op_CI_CI_sbrc_aligned_dirReg
; %bb.0:
	s_load_dwordx8 s[8:15], s[4:5], 0x0
	s_mov_b32 s34, 0
	s_mov_b32 s30, 3
	s_mov_b64 s[36:37], 2
	s_waitcnt lgkmcnt(0)
	s_load_dword s0, s[12:13], 0x8
	s_load_dwordx4 s[20:23], s[4:5], 0x58
	s_load_dwordx2 s[28:29], s[4:5], 0x20
	s_load_dwordx4 s[24:27], s[14:15], 0x0
	s_mov_b32 s5, s34
	s_waitcnt lgkmcnt(0)
	s_add_i32 s0, s0, -1
	s_lshr_b32 s0, s0, 3
	s_add_i32 s33, s0, 1
	v_cvt_f32_u32_e32 v1, s33
	s_sub_i32 s2, 0, s33
	s_load_dwordx4 s[16:19], s[28:29], 0x0
	v_cmp_gt_u64_e64 s[0:1], s[10:11], 2
	v_rcp_iflag_f32_e32 v1, v1
	v_mul_f32_e32 v1, 0x4f7ffffe, v1
	v_cvt_u32_f32_e32 v1, v1
	v_readfirstlane_b32 s3, v1
	s_mul_i32 s2, s2, s3
	s_mul_hi_u32 s2, s3, s2
	s_add_i32 s3, s3, s2
	s_mul_hi_u32 s2, s6, s3
	s_mul_i32 s3, s2, s33
	s_sub_i32 s3, s6, s3
	s_add_i32 s4, s2, 1
	s_sub_i32 s7, s3, s33
	s_cmp_ge_u32 s3, s33
	s_cselect_b32 s2, s4, s2
	s_cselect_b32 s3, s7, s3
	s_add_i32 s4, s2, 1
	s_cmp_ge_u32 s3, s33
	s_cselect_b32 s7, s4, s2
	s_mul_i32 s2, s7, s33
	s_sub_i32 s2, s6, s2
	s_lshl_b32 s2, s2, 3
	s_waitcnt lgkmcnt(0)
	s_mul_i32 s3, s17, s2
	s_mul_hi_u32 s19, s16, s2
	s_mul_i32 s4, s2, s26
	s_mul_i32 s2, s16, s2
	s_add_i32 s3, s19, s3
	s_and_b64 vcc, exec, s[0:1]
	s_cbranch_vccz .LBB0_9
; %bb.1:
	v_mov_b32_e32 v1, s10
	v_mov_b32_e32 v2, s11
.LBB0_2:                                ; =>This Inner Loop Header: Depth=1
	s_lshl_b64 s[36:37], s[36:37], 3
	s_add_u32 s0, s12, s36
	s_addc_u32 s1, s13, s37
	s_load_dwordx2 s[38:39], s[0:1], 0x0
	s_waitcnt lgkmcnt(0)
	s_mov_b32 s35, s39
	s_cmp_lg_u64 s[34:35], 0
	s_cbranch_scc0 .LBB0_7
; %bb.3:                                ;   in Loop: Header=BB0_2 Depth=1
	v_cvt_f32_u32_e32 v3, s38
	v_cvt_f32_u32_e32 v4, s39
	s_sub_u32 s0, 0, s38
	s_subb_u32 s1, 0, s39
	v_mac_f32_e32 v3, 0x4f800000, v4
	v_rcp_f32_e32 v3, v3
	v_mul_f32_e32 v3, 0x5f7ffffc, v3
	v_mul_f32_e32 v4, 0x2f800000, v3
	v_trunc_f32_e32 v4, v4
	v_mac_f32_e32 v3, 0xcf800000, v4
	v_cvt_u32_f32_e32 v4, v4
	v_cvt_u32_f32_e32 v3, v3
	v_readfirstlane_b32 s19, v4
	v_readfirstlane_b32 s27, v3
	s_mul_i32 s31, s0, s19
	s_mul_hi_u32 s40, s0, s27
	s_mul_i32 s35, s1, s27
	s_add_i32 s31, s40, s31
	s_mul_i32 s41, s0, s27
	s_add_i32 s31, s31, s35
	s_mul_hi_u32 s35, s27, s31
	s_mul_i32 s40, s27, s31
	s_mul_hi_u32 s27, s27, s41
	s_add_u32 s27, s27, s40
	s_addc_u32 s35, 0, s35
	s_mul_hi_u32 s42, s19, s41
	s_mul_i32 s41, s19, s41
	s_add_u32 s27, s27, s41
	s_mul_hi_u32 s40, s19, s31
	s_addc_u32 s27, s35, s42
	s_addc_u32 s35, s40, 0
	s_mul_i32 s31, s19, s31
	s_add_u32 s27, s27, s31
	s_addc_u32 s31, 0, s35
	v_add_co_u32_e32 v3, vcc, s27, v3
	s_cmp_lg_u64 vcc, 0
	s_addc_u32 s19, s19, s31
	v_readfirstlane_b32 s31, v3
	s_mul_i32 s27, s0, s19
	s_mul_hi_u32 s35, s0, s31
	s_add_i32 s27, s35, s27
	s_mul_i32 s1, s1, s31
	s_add_i32 s27, s27, s1
	s_mul_i32 s0, s0, s31
	s_mul_hi_u32 s35, s19, s0
	s_mul_i32 s40, s19, s0
	s_mul_i32 s42, s31, s27
	s_mul_hi_u32 s0, s31, s0
	s_mul_hi_u32 s41, s31, s27
	s_add_u32 s0, s0, s42
	s_addc_u32 s31, 0, s41
	s_add_u32 s0, s0, s40
	s_mul_hi_u32 s1, s19, s27
	s_addc_u32 s0, s31, s35
	s_addc_u32 s1, s1, 0
	s_mul_i32 s27, s19, s27
	s_add_u32 s0, s0, s27
	s_addc_u32 s1, 0, s1
	v_add_co_u32_e32 v3, vcc, s0, v3
	s_cmp_lg_u64 vcc, 0
	s_addc_u32 s0, s19, s1
	v_readfirstlane_b32 s19, v3
	s_mul_hi_u32 s1, s7, s0
	s_mul_i32 s0, s7, s0
	s_mul_hi_u32 s19, s7, s19
	s_add_u32 s0, s19, s0
	s_addc_u32 s19, 0, s1
	s_mul_i32 s0, s39, s19
	s_mul_hi_u32 s1, s38, s19
	s_add_i32 s27, s1, s0
	s_mul_i32 s1, s38, s19
	v_mov_b32_e32 v3, s1
	s_sub_i32 s0, 0, s27
	v_sub_co_u32_e32 v3, vcc, s7, v3
	s_cmp_lg_u64 vcc, 0
	s_subb_u32 s31, s0, s39
	v_subrev_co_u32_e64 v4, s[0:1], s38, v3
	s_cmp_lg_u64 s[0:1], 0
	s_subb_u32 s0, s31, 0
	s_cmp_ge_u32 s0, s39
	v_readfirstlane_b32 s31, v4
	s_cselect_b32 s1, -1, 0
	s_cmp_ge_u32 s31, s38
	s_cselect_b32 s31, -1, 0
	s_cmp_eq_u32 s0, s39
	s_cselect_b32 s0, s31, s1
	s_add_u32 s1, s19, 1
	s_addc_u32 s31, 0, 0
	s_add_u32 s35, s19, 2
	s_addc_u32 s40, 0, 0
	s_cmp_lg_u32 s0, 0
	s_cselect_b32 s0, s35, s1
	s_cselect_b32 s1, s40, s31
	s_cmp_lg_u64 vcc, 0
	s_subb_u32 s27, 0, s27
	s_cmp_ge_u32 s27, s39
	v_readfirstlane_b32 s35, v3
	s_cselect_b32 s31, -1, 0
	s_cmp_ge_u32 s35, s38
	s_cselect_b32 s35, -1, 0
	s_cmp_eq_u32 s27, s39
	s_cselect_b32 s27, s35, s31
	s_cmp_lg_u32 s27, 0
	s_cselect_b32 s1, s1, 0
	s_cselect_b32 s0, s0, s19
	s_cbranch_execnz .LBB0_5
.LBB0_4:                                ;   in Loop: Header=BB0_2 Depth=1
	v_cvt_f32_u32_e32 v3, s38
	s_sub_i32 s0, 0, s38
	v_rcp_iflag_f32_e32 v3, v3
	v_mul_f32_e32 v3, 0x4f7ffffe, v3
	v_cvt_u32_f32_e32 v3, v3
	v_readfirstlane_b32 s1, v3
	s_mul_i32 s0, s0, s1
	s_mul_hi_u32 s0, s1, s0
	s_add_i32 s1, s1, s0
	s_mul_hi_u32 s0, s7, s1
	s_mul_i32 s19, s0, s38
	s_sub_i32 s19, s7, s19
	s_add_i32 s1, s0, 1
	s_sub_i32 s27, s19, s38
	s_cmp_ge_u32 s19, s38
	s_cselect_b32 s0, s1, s0
	s_cselect_b32 s19, s27, s19
	s_add_i32 s1, s0, 1
	s_cmp_ge_u32 s19, s38
	s_cselect_b32 s0, s1, s0
	s_mov_b32 s1, s34
.LBB0_5:                                ;   in Loop: Header=BB0_2 Depth=1
	s_mul_i32 s19, s0, s39
	s_mul_hi_u32 s27, s0, s38
	s_add_i32 s19, s27, s19
	s_mul_i32 s1, s1, s38
	s_add_i32 s19, s19, s1
	s_mul_i32 s1, s0, s38
	s_sub_u32 s1, s7, s1
	s_subb_u32 s7, 0, s19
	s_add_u32 s40, s14, s36
	s_addc_u32 s41, s15, s37
	s_load_dwordx2 s[40:41], s[40:41], 0x0
	s_mov_b32 s31, s34
	v_cmp_ge_u64_e32 vcc, s[30:31], v[1:2]
	s_mul_i32 s33, s33, s38
	s_waitcnt lgkmcnt(0)
	s_mul_i32 s19, s40, s7
	s_mul_hi_u32 s27, s40, s1
	s_add_i32 s19, s27, s19
	s_mul_i32 s27, s41, s1
	s_add_i32 s19, s19, s27
	s_mul_i32 s27, s40, s1
	s_add_u32 s4, s27, s4
	s_addc_u32 s5, s19, s5
	s_add_u32 s36, s28, s36
	s_addc_u32 s37, s29, s37
	s_load_dwordx2 s[36:37], s[36:37], 0x0
	s_waitcnt lgkmcnt(0)
	s_mul_i32 s7, s36, s7
	s_mul_hi_u32 s19, s36, s1
	s_add_i32 s7, s19, s7
	s_mul_i32 s19, s37, s1
	s_add_i32 s7, s7, s19
	s_mul_i32 s1, s36, s1
	s_add_u32 s2, s1, s2
	s_addc_u32 s3, s7, s3
	s_mov_b64 s[36:37], s[30:31]
	s_add_i32 s30, s30, 1
	s_cbranch_vccnz .LBB0_8
; %bb.6:                                ;   in Loop: Header=BB0_2 Depth=1
	s_mov_b32 s7, s0
	s_branch .LBB0_2
.LBB0_7:                                ;   in Loop: Header=BB0_2 Depth=1
                                        ; implicit-def: $sgpr0_sgpr1
	s_branch .LBB0_4
.LBB0_8:
	v_cvt_f32_u32_e32 v1, s33
	s_sub_i32 s0, 0, s33
	v_rcp_iflag_f32_e32 v1, v1
	v_mul_f32_e32 v1, 0x4f7ffffe, v1
	v_cvt_u32_f32_e32 v1, v1
	v_readfirstlane_b32 s1, v1
	s_mul_i32 s0, s0, s1
	s_mul_hi_u32 s0, s1, s0
	s_add_i32 s1, s1, s0
	s_mul_hi_u32 s0, s6, s1
	s_mul_i32 s1, s0, s33
	s_sub_i32 s1, s6, s1
	s_add_i32 s7, s0, 1
	s_sub_i32 s6, s1, s33
	s_cmp_ge_u32 s1, s33
	s_cselect_b32 s0, s7, s0
	s_cselect_b32 s1, s6, s1
	s_add_i32 s6, s0, 1
	s_cmp_ge_u32 s1, s33
	s_cselect_b32 s7, s6, s0
.LBB0_9:
	s_lshl_b64 s[0:1], s[10:11], 3
	s_add_u32 s10, s14, s0
	s_addc_u32 s11, s15, s1
	s_load_dwordx2 s[10:11], s[10:11], 0x0
	v_mul_u32_u24_e32 v1, 0x10e, v0
	v_lshrrev_b32_e32 v20, 16, v1
	v_mul_lo_u16_e32 v1, 0xf3, v20
	v_sub_u16_e32 v21, v0, v1
	s_waitcnt lgkmcnt(0)
	s_mul_i32 s6, s11, s7
	s_mul_hi_u32 s11, s10, s7
	s_add_i32 s11, s11, s6
	s_add_u32 s0, s28, s0
	s_addc_u32 s1, s29, s1
	s_load_dwordx2 s[0:1], s[0:1], 0x0
	v_mad_u64_u32 v[3:4], s[12:13], s24, v21, 0
	s_mul_i32 s10, s10, s7
	v_add_u16_e32 v5, 0xd8, v0
	v_mov_b32_e32 v1, v4
	s_waitcnt lgkmcnt(0)
	s_mul_i32 s1, s1, s7
	s_mul_hi_u32 s6, s0, s7
	v_mad_u64_u32 v[1:2], s[12:13], s25, v21, v[1:2]
	s_add_i32 s1, s6, s1
	s_lshl_b64 s[10:11], s[10:11], 2
	v_mul_u32_u24_e32 v6, 0x10e, v5
	s_add_u32 s6, s20, s10
	v_lshrrev_b32_e32 v22, 16, v6
	s_addc_u32 s10, s21, s11
	s_lshl_b64 s[4:5], s[4:5], 2
	v_mul_lo_u16_e32 v6, 0xf3, v22
	s_add_u32 s4, s6, s4
	v_sub_u16_e32 v23, v5, v6
	v_mov_b32_e32 v4, v1
	v_mul_lo_u32 v1, s26, v20
	s_addc_u32 s5, s10, s5
	v_mad_u64_u32 v[5:6], s[10:11], s24, v23, 0
	v_lshlrev_b64 v[3:4], 2, v[3:4]
	v_mov_b32_e32 v2, 0
	v_mov_b32_e32 v7, s5
	v_add_co_u32_e32 v8, vcc, s4, v3
	v_addc_co_u32_e32 v9, vcc, v7, v4, vcc
	v_lshlrev_b64 v[3:4], 2, v[1:2]
	v_mov_b32_e32 v1, v6
	v_mad_u64_u32 v[6:7], s[10:11], s25, v23, v[1:2]
	v_add_u16_e32 v7, 0x1b0, v0
	v_add_co_u32_e32 v3, vcc, v8, v3
	v_mul_u32_u24_e32 v8, 0x437, v7
	v_lshrrev_b32_e32 v24, 18, v8
	v_mul_lo_u16_e32 v8, 0xf3, v24
	v_sub_u16_e32 v25, v7, v8
	v_mul_lo_u32 v1, s26, v22
	v_mad_u64_u32 v[7:8], s[10:11], s24, v25, 0
	v_lshlrev_b64 v[5:6], 2, v[5:6]
	v_addc_co_u32_e32 v4, vcc, v9, v4, vcc
	v_mov_b32_e32 v9, s5
	v_add_co_u32_e32 v10, vcc, s4, v5
	v_addc_co_u32_e32 v11, vcc, v9, v6, vcc
	v_lshlrev_b64 v[5:6], 2, v[1:2]
	v_mov_b32_e32 v1, v8
	v_mad_u64_u32 v[8:9], s[10:11], s25, v25, v[1:2]
	v_add_u16_e32 v9, 0x288, v0
	v_add_co_u32_e32 v5, vcc, v10, v5
	v_mul_u32_u24_e32 v10, 0x437, v9
	v_lshrrev_b32_e32 v26, 18, v10
	v_mul_lo_u16_e32 v10, 0xf3, v26
	v_sub_u16_e32 v27, v9, v10
	v_mul_lo_u32 v1, s26, v24
	v_mad_u64_u32 v[9:10], s[10:11], s24, v27, 0
	v_lshlrev_b64 v[7:8], 2, v[7:8]
	v_addc_co_u32_e32 v6, vcc, v11, v6, vcc
	;; [unrolled: 16-line block ×6, first 2 shown]
	v_mov_b32_e32 v19, s5
	v_add_co_u32_e32 v36, vcc, s4, v15
	v_addc_co_u32_e32 v37, vcc, v19, v16, vcc
	v_lshlrev_b64 v[15:16], 2, v[1:2]
	v_mov_b32_e32 v1, v18
	v_mad_u64_u32 v[18:19], s[10:11], s25, v35, v[1:2]
	global_load_dword v38, v[3:4], off
	global_load_dword v39, v[5:6], off
	v_add_co_u32_e32 v15, vcc, v36, v15
	v_lshlrev_b64 v[17:18], 2, v[17:18]
	v_add_u16_e32 v36, 0x6c0, v0
	v_addc_co_u32_e32 v16, vcc, v37, v16, vcc
	v_mul_u32_u24_e32 v37, 0x437, v36
	v_mov_b32_e32 v19, s5
	v_lshrrev_b32_e32 v37, 18, v37
	v_add_co_u32_e32 v17, vcc, s4, v17
	v_addc_co_u32_e32 v18, vcc, v19, v18, vcc
	global_load_dword v19, v[7:8], off
	v_mul_lo_u16_e32 v3, 0xf3, v37
	v_sub_u16_e32 v36, v36, v3
	v_mul_lo_u32 v1, s26, v34
	v_mad_u64_u32 v[3:4], s[10:11], s24, v36, 0
	s_movk_i32 s6, 0x288
	v_lshlrev_b64 v[5:6], 2, v[1:2]
	v_mov_b32_e32 v1, v4
	v_mad_u64_u32 v[7:8], s[10:11], s25, v36, v[1:2]
	global_load_dword v8, v[9:10], off
	v_mul_lo_u32 v1, s26, v37
	global_load_dword v9, v[11:12], off
	v_mov_b32_e32 v4, v7
	global_load_dword v10, v[13:14], off
	global_load_dword v11, v[15:16], off
	v_add_co_u32_e32 v5, vcc, v17, v5
	v_lshlrev_b64 v[3:4], 2, v[3:4]
	v_addc_co_u32_e32 v6, vcc, v18, v6, vcc
	v_mov_b32_e32 v7, s5
	v_add_co_u32_e32 v12, vcc, s4, v3
	v_addc_co_u32_e32 v7, vcc, v7, v4, vcc
	v_lshlrev_b64 v[3:4], 2, v[1:2]
	global_load_dword v1, v[5:6], off
	v_add_co_u32_e32 v3, vcc, v12, v3
	v_addc_co_u32_e32 v4, vcc, v7, v4, vcc
	global_load_dword v3, v[3:4], off
	v_lshlrev_b16_e32 v4, 3, v21
	v_or_b32_e32 v4, v4, v20
	v_and_b32_e32 v4, 0xffff, v4
	v_lshl_add_u32 v4, v4, 2, 0
	v_and_b32_e32 v5, 7, v0
	v_lshrrev_b32_e32 v7, 3, v0
	s_movk_i32 s4, 0x3aee
	s_mov_b32 s5, 0xffff
	v_cmp_gt_u32_e32 vcc, s6, v0
	s_movk_i32 s6, 0x1b0
	s_lshl_b64 s[2:3], s[2:3], 2
	s_mul_i32 s0, s0, s7
	s_add_u32 s2, s22, s2
	s_addc_u32 s3, s23, s3
	s_lshl_b64 s[0:1], s[0:1], 2
	s_add_u32 s0, s0, s2
	s_addc_u32 s1, s1, s3
	s_waitcnt vmcnt(8)
	ds_write_b32 v4, v38
	v_lshlrev_b16_e32 v4, 3, v23
	v_or_b32_e32 v4, v4, v22
	v_and_b32_e32 v4, 0xffff, v4
	v_lshl_add_u32 v4, v4, 2, 0
	s_waitcnt vmcnt(7)
	ds_write_b32 v4, v39
	v_lshlrev_b16_e32 v4, 3, v25
	v_or_b32_e32 v4, v4, v24
	v_and_b32_e32 v4, 0xffff, v4
	v_lshl_add_u32 v4, v4, 2, 0
	v_mul_lo_u16_e32 v22, 0x56, v7
	s_waitcnt vmcnt(6)
	ds_write_b32 v4, v19
	v_lshlrev_b16_e32 v4, 3, v27
	v_or_b32_e32 v4, v4, v26
	v_and_b32_e32 v4, 0xffff, v4
	v_lshl_add_u32 v4, v4, 2, 0
	s_waitcnt vmcnt(5)
	ds_write_b32 v4, v8
	v_lshlrev_b16_e32 v4, 3, v29
	v_add_u16_e32 v4, v4, v28
	v_lshl_add_u32 v4, v4, 2, 0
	s_waitcnt vmcnt(4)
	ds_write_b32 v4, v9
	v_lshlrev_b16_e32 v4, 3, v31
	v_or_b32_e32 v4, v4, v30
	v_and_b32_e32 v4, 0xffff, v4
	v_lshl_add_u32 v4, v4, 2, 0
	s_waitcnt vmcnt(3)
	ds_write_b32 v4, v10
	v_lshlrev_b16_e32 v4, 3, v33
	v_add_u16_e32 v4, v4, v32
	v_lshl_add_u32 v4, v4, 2, 0
	s_waitcnt vmcnt(2)
	ds_write_b32 v4, v11
	v_lshlrev_b16_e32 v4, 3, v35
	v_add_u16_e32 v4, v4, v34
	;; [unrolled: 5-line block ×3, first 2 shown]
	v_lshl_add_u32 v1, v1, 2, 0
	s_waitcnt vmcnt(0)
	ds_write_b32 v1, v3
	v_lshlrev_b32_e32 v3, 5, v7
	v_lshlrev_b32_e32 v1, 2, v5
	v_add3_u32 v3, 0, v3, v1
	v_add_u32_e32 v4, 0x680, v3
	s_waitcnt lgkmcnt(0)
	s_barrier
	ds_read2_b32 v[10:11], v4 offset0:16 offset1:232
	v_add_u32_e32 v4, 0x1400, v3
	ds_read2_b32 v[12:13], v4 offset0:16 offset1:232
	ds_read2_b32 v[8:9], v3 offset1:216
	ds_read_b32 v15, v3 offset:6912
	v_lshl_add_u32 v21, v7, 6, v3
	s_waitcnt lgkmcnt(2)
	v_pk_add_f16 v6, v11, v12
	s_waitcnt lgkmcnt(1)
	v_pk_add_f16 v4, v8, v11
	v_pk_fma_f16 v6, v6, 0.5, v8 op_sel_hi:[1,0,1] neg_lo:[1,0,0] neg_hi:[1,0,0]
	v_pk_add_f16 v8, v11, v12 neg_lo:[0,1] neg_hi:[0,1]
	v_add_u32_e32 v11, 0xd00, v3
	v_pk_add_f16 v4, v4, v12
	ds_read2_b32 v[11:12], v11 offset0:32 offset1:248
	v_pk_mul_f16 v8, v8, s4 op_sel_hi:[1,0]
	v_pk_add_f16 v14, v6, v8 op_sel:[0,1] op_sel_hi:[1,0] neg_lo:[0,1] neg_hi:[0,1]
	v_pk_add_f16 v6, v6, v8 op_sel:[0,1] op_sel_hi:[1,0]
	v_bfi_b32 v8, s5, v14, v6
	v_bfi_b32 v6, s5, v6, v14
	s_waitcnt lgkmcnt(0)
	v_pk_add_f16 v14, v11, v13
	v_pk_fma_f16 v14, v14, 0.5, v9 op_sel_hi:[1,0,1] neg_lo:[1,0,0] neg_hi:[1,0,0]
	v_pk_add_f16 v9, v9, v11
	v_pk_add_f16 v11, v11, v13 neg_lo:[0,1] neg_hi:[0,1]
	v_pk_mul_f16 v11, v11, s4 op_sel_hi:[1,0]
	v_pk_add_f16 v9, v9, v13
	v_pk_add_f16 v13, v14, v11 op_sel:[0,1] op_sel_hi:[1,0] neg_lo:[0,1] neg_hi:[0,1]
	v_pk_add_f16 v11, v14, v11 op_sel:[0,1] op_sel_hi:[1,0]
	v_bfi_b32 v14, s5, v13, v11
	s_barrier
	ds_write2_b32 v21, v4, v8 offset1:8
	ds_write_b32 v21, v6 offset:64
	v_add_u32_e32 v4, 0x800, v21
	v_bfi_b32 v11, s5, v11, v13
	ds_write2_b32 v4, v9, v14 offset0:136 offset1:144
	ds_write_b32 v21, v11 offset:2656
	v_pk_add_f16 v4, v12, v15
	v_pk_add_f16 v6, v12, v15 neg_lo:[0,1] neg_hi:[0,1]
	v_pk_fma_f16 v4, v4, 0.5, v10 op_sel_hi:[1,0,1] neg_lo:[1,0,0] neg_hi:[1,0,0]
	v_pk_mul_f16 v6, v6, s4 op_sel_hi:[1,0]
	v_pk_add_f16 v8, v4, v6 op_sel:[0,1] op_sel_hi:[1,0] neg_lo:[0,1] neg_hi:[0,1]
	v_pk_add_f16 v4, v4, v6 op_sel:[0,1] op_sel_hi:[1,0]
	v_pk_add_f16 v13, v10, v12
	v_bfi_b32 v6, s5, v8, v4
	v_bfi_b32 v4, s5, v4, v8
	v_mov_b32_e32 v10, 3
	ds_write_b32 v21, v4 offset:5248
	v_mul_lo_u16_sdwa v4, v22, v10 dst_sel:DWORD dst_unused:UNUSED_PAD src0_sel:BYTE_1 src1_sel:DWORD
	v_sub_u16_e32 v4, v7, v4
	v_and_b32_e32 v23, 0xff, v4
	v_pk_add_f16 v13, v13, v15
	v_add_u32_e32 v9, 0x1400, v21
	v_lshlrev_b32_e32 v4, 3, v23
	ds_write2_b32 v9, v13, v6 offset0:16 offset1:24
	s_waitcnt lgkmcnt(0)
	s_barrier
	global_load_dwordx2 v[8:9], v4, s[8:9]
	v_add_u32_e32 v6, 27, v7
	v_mul_lo_u16_e32 v24, 0x56, v6
	v_mul_lo_u16_sdwa v4, v24, v10 dst_sel:DWORD dst_unused:UNUSED_PAD src0_sel:BYTE_1 src1_sel:DWORD
	v_sub_u16_e32 v4, v6, v4
	v_and_b32_e32 v25, 0xff, v4
	v_lshlrev_b32_e32 v4, 3, v25
	global_load_dwordx2 v[13:14], v4, s[8:9]
	v_add_u32_e32 v4, 54, v7
	v_mul_lo_u16_e32 v26, 0x56, v4
	v_mul_lo_u16_sdwa v10, v26, v10 dst_sel:DWORD dst_unused:UNUSED_PAD src0_sel:BYTE_1 src1_sel:DWORD
	v_sub_u16_e32 v10, v4, v10
	v_and_b32_e32 v27, 0xff, v10
	v_lshlrev_b32_e32 v10, 3, v27
	global_load_dwordx2 v[15:16], v10, s[8:9]
	v_add_u32_e32 v11, 0xa00, v3
	ds_read2_b32 v[17:18], v11 offset0:8 offset1:224
	v_add_u32_e32 v12, 0x1080, v3
	ds_read2_b32 v[19:20], v12 offset0:24 offset1:240
	ds_read_b32 v32, v3
	s_mov_b32 s5, 0xbaee
	s_waitcnt lgkmcnt(2)
	v_lshrrev_b32_e32 v10, 16, v17
	v_lshrrev_b32_e32 v30, 16, v18
	s_waitcnt lgkmcnt(0)
	v_lshrrev_b32_e32 v35, 16, v32
	s_waitcnt vmcnt(2)
	v_mul_f16_sdwa v28, v8, v17 dst_sel:DWORD dst_unused:UNUSED_PAD src0_sel:WORD_1 src1_sel:DWORD
	v_fma_f16 v28, v8, v10, -v28
	v_mul_f16_sdwa v10, v8, v10 dst_sel:DWORD dst_unused:UNUSED_PAD src0_sel:WORD_1 src1_sel:DWORD
	v_fma_f16 v17, v8, v17, v10
	v_lshrrev_b32_e32 v8, 16, v20
	v_mul_f16_sdwa v10, v9, v20 dst_sel:DWORD dst_unused:UNUSED_PAD src0_sel:WORD_1 src1_sel:DWORD
	v_fma_f16 v29, v9, v8, -v10
	v_mul_f16_sdwa v8, v9, v8 dst_sel:DWORD dst_unused:UNUSED_PAD src0_sel:WORD_1 src1_sel:DWORD
	v_add_u32_e32 v10, 0x1780, v3
	v_fma_f16 v20, v9, v20, v8
	ds_read2_b32 v[8:9], v10 offset0:8 offset1:224
	s_waitcnt vmcnt(1)
	v_mul_f16_sdwa v31, v13, v30 dst_sel:DWORD dst_unused:UNUSED_PAD src0_sel:WORD_1 src1_sel:DWORD
	v_fma_f16 v31, v13, v18, v31
	v_mul_f16_sdwa v18, v13, v18 dst_sel:DWORD dst_unused:UNUSED_PAD src0_sel:WORD_1 src1_sel:DWORD
	v_fma_f16 v13, v13, v30, -v18
	s_waitcnt lgkmcnt(0)
	v_lshrrev_b32_e32 v18, 16, v8
	v_mul_f16_sdwa v30, v14, v8 dst_sel:DWORD dst_unused:UNUSED_PAD src0_sel:WORD_1 src1_sel:DWORD
	v_fma_f16 v30, v14, v18, -v30
	v_mul_f16_sdwa v18, v14, v18 dst_sel:DWORD dst_unused:UNUSED_PAD src0_sel:WORD_1 src1_sel:DWORD
	v_fma_f16 v14, v14, v8, v18
	v_lshrrev_b32_e32 v8, 16, v19
	s_waitcnt vmcnt(0)
	v_mul_f16_sdwa v18, v15, v8 dst_sel:DWORD dst_unused:UNUSED_PAD src0_sel:WORD_1 src1_sel:DWORD
	v_fma_f16 v18, v15, v19, v18
	v_mul_f16_sdwa v19, v15, v19 dst_sel:DWORD dst_unused:UNUSED_PAD src0_sel:WORD_1 src1_sel:DWORD
	v_add_f16_e32 v36, v35, v28
	v_fma_f16 v15, v15, v8, -v19
	v_lshrrev_b32_e32 v8, 16, v9
	v_add_f16_e32 v36, v36, v29
	v_sub_f16_e32 v37, v28, v29
	v_add_f16_e32 v28, v28, v29
	v_add_f16_e32 v29, v17, v20
	v_mul_f16_sdwa v19, v8, v16 dst_sel:DWORD dst_unused:UNUSED_PAD src0_sel:DWORD src1_sel:WORD_1
	v_fma_f16 v29, v29, -0.5, v32
	v_add_f16_e32 v32, v32, v17
	v_fma_f16 v19, v9, v16, v19
	v_mul_f16_sdwa v9, v9, v16 dst_sel:DWORD dst_unused:UNUSED_PAD src0_sel:DWORD src1_sel:WORD_1
	v_add_f16_e32 v32, v32, v20
	v_sub_f16_e32 v17, v17, v20
	v_mov_b32_e32 v20, 9
	v_fma_f16 v16, v8, v16, -v9
	v_add_u32_e32 v8, 0xa20, v21
	v_lshlrev_b32_e32 v9, 6, v6
	v_fma_f16 v28, v28, -0.5, v35
	v_mul_u32_u24_sdwa v22, v22, v20 dst_sel:DWORD dst_unused:UNUSED_PAD src0_sel:BYTE_1 src1_sel:DWORD
	v_sub_u32_e32 v8, v8, v9
	v_add_u32_e32 v9, 0x1440, v21
	v_lshlrev_b32_e32 v21, 6, v4
	v_add_lshl_u32 v22, v22, v23, 5
	v_pack_b32_f16 v23, v32, v36
	v_fma_f16 v32, v37, s5, v29
	v_fma_f16 v35, v17, s4, v28
	v_sub_u32_e32 v9, v9, v21
	ds_read_b32 v21, v8
	ds_read_u16 v33, v9
	ds_read_u16 v34, v9 offset:2
	v_pack_b32_f16 v32, v32, v35
	v_add3_u32 v22, 0, v22, v1
	s_waitcnt lgkmcnt(0)
	s_barrier
	ds_write2_b32 v22, v23, v32 offset1:24
	v_fma_f16 v23, v37, s4, v29
	v_fma_f16 v17, v17, s5, v28
	v_pack_b32_f16 v17, v23, v17
	ds_write_b32 v22, v17 offset:192
	v_lshrrev_b32_e32 v17, 16, v21
	v_add_f16_e32 v22, v17, v13
	v_sub_f16_e32 v23, v13, v30
	v_add_f16_e32 v13, v13, v30
	v_fma_f16 v13, v13, -0.5, v17
	v_add_f16_e32 v17, v31, v14
	v_fma_f16 v17, v17, -0.5, v21
	v_add_f16_e32 v21, v21, v31
	v_add_f16_e32 v22, v22, v30
	;; [unrolled: 1-line block ×3, first 2 shown]
	v_sub_f16_e32 v14, v31, v14
	v_mul_u32_u24_sdwa v24, v24, v20 dst_sel:DWORD dst_unused:UNUSED_PAD src0_sel:BYTE_1 src1_sel:DWORD
	v_add_lshl_u32 v24, v24, v25, 5
	v_pack_b32_f16 v21, v21, v22
	v_fma_f16 v22, v23, s5, v17
	v_fma_f16 v25, v14, s4, v13
	;; [unrolled: 1-line block ×4, first 2 shown]
	v_add3_u32 v24, 0, v24, v1
	v_pack_b32_f16 v13, v17, v13
	ds_write_b32 v24, v13 offset:192
	v_add_f16_e32 v13, v18, v19
	v_fma_f16 v13, v13, -0.5, v33
	v_sub_f16_e32 v14, v15, v16
	v_fma_f16 v17, v14, s5, v13
	v_fma_f16 v13, v14, s4, v13
	v_add_f16_e32 v14, v34, v15
	v_add_f16_e32 v15, v15, v16
	;; [unrolled: 1-line block ×3, first 2 shown]
	v_fma_f16 v15, v15, -0.5, v34
	v_add_f16_e32 v16, v33, v18
	v_sub_f16_e32 v18, v18, v19
	v_add_f16_e32 v16, v16, v19
	v_fma_f16 v19, v18, s4, v15
	v_fma_f16 v15, v18, s5, v15
	v_mul_u32_u24_sdwa v18, v26, v20 dst_sel:DWORD dst_unused:UNUSED_PAD src0_sel:BYTE_1 src1_sel:DWORD
	v_add_lshl_u32 v18, v18, v27, 5
	v_pack_b32_f16 v22, v22, v25
	v_pack_b32_f16 v14, v16, v14
	;; [unrolled: 1-line block ×3, first 2 shown]
	v_add3_u32 v17, 0, v18, v1
	v_pack_b32_f16 v13, v13, v15
	v_mul_lo_u16_e32 v23, 29, v7
	ds_write2_b32 v24, v21, v22 offset1:24
	ds_write_b32 v17, v13 offset:192
	v_mul_lo_u16_sdwa v13, v23, v20 dst_sel:DWORD dst_unused:UNUSED_PAD src0_sel:BYTE_1 src1_sel:DWORD
	v_sub_u16_e32 v13, v7, v13
	v_and_b32_e32 v24, 0xff, v13
	v_lshlrev_b32_e32 v13, 3, v24
	ds_write2_b32 v17, v14, v16 offset1:24
	s_waitcnt lgkmcnt(0)
	s_barrier
	global_load_dwordx2 v[13:14], v13, s[8:9] offset:24
	v_mul_lo_u16_e32 v15, 57, v6
	v_lshrrev_b16_e32 v25, 9, v15
	v_mul_lo_u16_e32 v15, 9, v25
	v_sub_u16_e32 v15, v6, v15
	v_and_b32_e32 v26, 0xff, v15
	v_lshlrev_b32_e32 v15, 3, v26
	global_load_dwordx2 v[15:16], v15, s[8:9] offset:24
	v_mul_lo_u16_e32 v17, 57, v4
	v_lshrrev_b16_e32 v27, 9, v17
	v_mul_lo_u16_e32 v17, 9, v27
	v_sub_u16_e32 v17, v4, v17
	v_and_b32_e32 v28, 0xff, v17
	v_lshlrev_b32_e32 v17, 3, v28
	global_load_dwordx2 v[17:18], v17, s[8:9] offset:24
	ds_read2_b32 v[19:20], v11 offset0:8 offset1:224
	ds_read2_b32 v[21:22], v12 offset0:24 offset1:240
	ds_read_b32 v33, v3
	s_waitcnt lgkmcnt(2)
	v_lshrrev_b32_e32 v29, 16, v19
	v_lshrrev_b32_e32 v31, 16, v20
	s_waitcnt lgkmcnt(0)
	v_lshrrev_b32_e32 v35, 16, v33
	s_waitcnt vmcnt(2)
	v_mul_f16_sdwa v30, v13, v19 dst_sel:DWORD dst_unused:UNUSED_PAD src0_sel:WORD_1 src1_sel:DWORD
	v_fma_f16 v30, v13, v29, -v30
	v_mul_f16_sdwa v29, v13, v29 dst_sel:DWORD dst_unused:UNUSED_PAD src0_sel:WORD_1 src1_sel:DWORD
	v_fma_f16 v19, v13, v19, v29
	v_lshrrev_b32_e32 v13, 16, v22
	v_mul_f16_sdwa v29, v14, v22 dst_sel:DWORD dst_unused:UNUSED_PAD src0_sel:WORD_1 src1_sel:DWORD
	v_fma_f16 v29, v14, v13, -v29
	v_mul_f16_sdwa v13, v14, v13 dst_sel:DWORD dst_unused:UNUSED_PAD src0_sel:WORD_1 src1_sel:DWORD
	v_fma_f16 v22, v14, v22, v13
	ds_read2_b32 v[13:14], v10 offset0:8 offset1:224
	s_waitcnt vmcnt(1)
	v_mul_f16_sdwa v32, v15, v31 dst_sel:DWORD dst_unused:UNUSED_PAD src0_sel:WORD_1 src1_sel:DWORD
	v_fma_f16 v32, v15, v20, v32
	v_mul_f16_sdwa v20, v15, v20 dst_sel:DWORD dst_unused:UNUSED_PAD src0_sel:WORD_1 src1_sel:DWORD
	v_fma_f16 v15, v15, v31, -v20
	s_waitcnt lgkmcnt(0)
	v_lshrrev_b32_e32 v20, 16, v13
	v_mul_f16_sdwa v31, v16, v13 dst_sel:DWORD dst_unused:UNUSED_PAD src0_sel:WORD_1 src1_sel:DWORD
	v_fma_f16 v31, v16, v20, -v31
	v_mul_f16_sdwa v20, v16, v20 dst_sel:DWORD dst_unused:UNUSED_PAD src0_sel:WORD_1 src1_sel:DWORD
	v_fma_f16 v13, v16, v13, v20
	v_lshrrev_b32_e32 v16, 16, v21
	v_add_f16_e32 v36, v35, v30
	s_waitcnt vmcnt(0)
	v_mul_f16_sdwa v20, v17, v16 dst_sel:DWORD dst_unused:UNUSED_PAD src0_sel:WORD_1 src1_sel:DWORD
	v_add_f16_e32 v36, v36, v29
	v_sub_f16_e32 v37, v30, v29
	v_add_f16_e32 v29, v30, v29
	v_add_f16_e32 v30, v19, v22
	v_fma_f16 v20, v17, v21, v20
	v_mul_f16_sdwa v21, v17, v21 dst_sel:DWORD dst_unused:UNUSED_PAD src0_sel:WORD_1 src1_sel:DWORD
	v_fma_f16 v30, v30, -0.5, v33
	v_add_f16_e32 v33, v33, v19
	v_fma_f16 v16, v17, v16, -v21
	v_lshrrev_b32_e32 v17, 16, v14
	v_add_f16_e32 v33, v33, v22
	v_sub_f16_e32 v19, v19, v22
	v_mov_b32_e32 v22, 27
	v_mul_f16_sdwa v21, v17, v18 dst_sel:DWORD dst_unused:UNUSED_PAD src0_sel:DWORD src1_sel:WORD_1
	v_fma_f16 v29, v29, -0.5, v35
	v_mul_u32_u24_sdwa v22, v23, v22 dst_sel:DWORD dst_unused:UNUSED_PAD src0_sel:BYTE_1 src1_sel:DWORD
	v_fma_f16 v21, v14, v18, v21
	v_mul_f16_sdwa v14, v14, v18 dst_sel:DWORD dst_unused:UNUSED_PAD src0_sel:DWORD src1_sel:WORD_1
	v_add_lshl_u32 v22, v22, v24, 5
	v_pack_b32_f16 v23, v33, v36
	v_fma_f16 v24, v37, s5, v30
	v_fma_f16 v33, v19, s4, v29
	v_fma_f16 v14, v17, v18, -v14
	ds_read_b32 v17, v8
	ds_read_u16 v18, v9
	ds_read_u16 v34, v9 offset:2
	v_pack_b32_f16 v24, v24, v33
	v_add3_u32 v22, 0, v22, v1
	s_waitcnt lgkmcnt(0)
	s_barrier
	ds_write2_b32 v22, v23, v24 offset1:72
	v_fma_f16 v23, v37, s4, v30
	v_fma_f16 v19, v19, s5, v29
	v_pack_b32_f16 v19, v23, v19
	ds_write_b32 v22, v19 offset:576
	v_lshrrev_b32_e32 v19, 16, v17
	v_add_f16_e32 v22, v19, v15
	v_sub_f16_e32 v23, v15, v31
	v_add_f16_e32 v15, v15, v31
	v_fma_f16 v15, v15, -0.5, v19
	v_add_f16_e32 v19, v32, v13
	v_fma_f16 v19, v19, -0.5, v17
	v_add_f16_e32 v17, v17, v32
	v_add_f16_e32 v22, v22, v31
	;; [unrolled: 1-line block ×3, first 2 shown]
	v_sub_f16_e32 v13, v32, v13
	v_mul_u32_u24_e32 v24, 27, v25
	v_add_lshl_u32 v24, v24, v26, 5
	v_pack_b32_f16 v17, v17, v22
	v_fma_f16 v22, v23, s5, v19
	v_fma_f16 v25, v13, s4, v15
	v_pack_b32_f16 v22, v22, v25
	v_add3_u32 v24, 0, v24, v1
	ds_write2_b32 v24, v17, v22 offset1:72
	v_fma_f16 v17, v23, s4, v19
	v_fma_f16 v13, v13, s5, v15
	v_pack_b32_f16 v13, v17, v13
	ds_write_b32 v24, v13 offset:576
	v_add_f16_e32 v13, v20, v21
	v_fma_f16 v13, v13, -0.5, v18
	v_sub_f16_e32 v15, v16, v14
	v_fma_f16 v17, v15, s5, v13
	v_fma_f16 v13, v15, s4, v13
	v_add_f16_e32 v15, v34, v16
	v_add_f16_e32 v15, v15, v14
	;; [unrolled: 1-line block ×3, first 2 shown]
	v_fma_f16 v14, v14, -0.5, v34
	v_add_f16_e32 v16, v18, v20
	v_sub_f16_e32 v18, v20, v21
	v_fma_f16 v19, v18, s4, v14
	v_fma_f16 v14, v18, s5, v14
	v_mul_u32_u24_e32 v18, 27, v27
	v_add_f16_e32 v16, v16, v21
	v_add_lshl_u32 v18, v18, v28, 5
	v_pack_b32_f16 v15, v16, v15
	v_add3_u32 v16, 0, v18, v1
	v_pack_b32_f16 v13, v13, v14
	ds_write_b32 v16, v13 offset:576
	v_mul_lo_u16_e32 v13, 19, v7
	v_lshrrev_b16_e32 v23, 9, v13
	v_mul_lo_u16_e32 v13, 27, v23
	v_sub_u16_e32 v13, v7, v13
	v_and_b32_e32 v24, 0xff, v13
	v_pack_b32_f16 v17, v17, v19
	v_lshlrev_b32_e32 v13, 3, v24
	ds_write2_b32 v16, v15, v17 offset1:72
	s_waitcnt lgkmcnt(0)
	s_barrier
	global_load_dwordx2 v[13:14], v13, s[8:9] offset:96
	v_mul_lo_u16_e32 v15, 19, v6
	v_lshrrev_b16_e32 v25, 9, v15
	v_mul_lo_u16_e32 v15, 27, v25
	v_sub_u16_e32 v15, v6, v15
	v_and_b32_e32 v26, 0xff, v15
	v_lshlrev_b32_e32 v15, 3, v26
	global_load_dwordx2 v[15:16], v15, s[8:9] offset:96
	v_mul_lo_u16_e32 v17, 19, v4
	v_lshrrev_b16_e32 v27, 9, v17
	v_mul_lo_u16_e32 v17, 27, v27
	v_sub_u16_e32 v17, v4, v17
	v_and_b32_e32 v28, 0xff, v17
	v_lshlrev_b32_e32 v17, 3, v28
	global_load_dwordx2 v[17:18], v17, s[8:9] offset:96
	ds_read2_b32 v[19:20], v11 offset0:8 offset1:224
	ds_read2_b32 v[21:22], v12 offset0:24 offset1:240
	ds_read_b32 v33, v3
	s_waitcnt lgkmcnt(2)
	v_lshrrev_b32_e32 v29, 16, v19
	v_lshrrev_b32_e32 v31, 16, v20
	s_waitcnt lgkmcnt(0)
	v_lshrrev_b32_e32 v35, 16, v33
	s_waitcnt vmcnt(2)
	v_mul_f16_sdwa v30, v13, v19 dst_sel:DWORD dst_unused:UNUSED_PAD src0_sel:WORD_1 src1_sel:DWORD
	v_fma_f16 v30, v13, v29, -v30
	v_mul_f16_sdwa v29, v13, v29 dst_sel:DWORD dst_unused:UNUSED_PAD src0_sel:WORD_1 src1_sel:DWORD
	v_fma_f16 v19, v13, v19, v29
	v_lshrrev_b32_e32 v13, 16, v22
	v_mul_f16_sdwa v29, v14, v22 dst_sel:DWORD dst_unused:UNUSED_PAD src0_sel:WORD_1 src1_sel:DWORD
	v_fma_f16 v29, v14, v13, -v29
	v_mul_f16_sdwa v13, v14, v13 dst_sel:DWORD dst_unused:UNUSED_PAD src0_sel:WORD_1 src1_sel:DWORD
	v_fma_f16 v22, v14, v22, v13
	ds_read2_b32 v[13:14], v10 offset0:8 offset1:224
	s_waitcnt vmcnt(1)
	v_mul_f16_sdwa v32, v15, v31 dst_sel:DWORD dst_unused:UNUSED_PAD src0_sel:WORD_1 src1_sel:DWORD
	v_fma_f16 v32, v15, v20, v32
	v_mul_f16_sdwa v20, v15, v20 dst_sel:DWORD dst_unused:UNUSED_PAD src0_sel:WORD_1 src1_sel:DWORD
	v_fma_f16 v15, v15, v31, -v20
	s_waitcnt lgkmcnt(0)
	v_lshrrev_b32_e32 v20, 16, v13
	v_mul_f16_sdwa v31, v16, v13 dst_sel:DWORD dst_unused:UNUSED_PAD src0_sel:WORD_1 src1_sel:DWORD
	v_fma_f16 v31, v16, v20, -v31
	v_mul_f16_sdwa v20, v16, v20 dst_sel:DWORD dst_unused:UNUSED_PAD src0_sel:WORD_1 src1_sel:DWORD
	v_fma_f16 v13, v16, v13, v20
	v_lshrrev_b32_e32 v16, 16, v21
	s_waitcnt vmcnt(0)
	v_mul_f16_sdwa v20, v17, v16 dst_sel:DWORD dst_unused:UNUSED_PAD src0_sel:WORD_1 src1_sel:DWORD
	v_add_f16_e32 v36, v35, v30
	v_fma_f16 v20, v17, v21, v20
	v_mul_f16_sdwa v21, v17, v21 dst_sel:DWORD dst_unused:UNUSED_PAD src0_sel:WORD_1 src1_sel:DWORD
	v_add_f16_e32 v36, v36, v29
	v_sub_f16_e32 v37, v30, v29
	v_add_f16_e32 v29, v30, v29
	v_add_f16_e32 v30, v19, v22
	v_fma_f16 v16, v17, v16, -v21
	v_lshrrev_b32_e32 v17, 16, v14
	v_fma_f16 v30, v30, -0.5, v33
	v_add_f16_e32 v33, v33, v19
	v_mul_f16_sdwa v21, v17, v18 dst_sel:DWORD dst_unused:UNUSED_PAD src0_sel:DWORD src1_sel:WORD_1
	v_fma_f16 v29, v29, -0.5, v35
	v_add_f16_e32 v33, v33, v22
	v_sub_f16_e32 v19, v19, v22
	v_mul_u32_u24_e32 v22, 0x51, v23
	v_fma_f16 v21, v14, v18, v21
	v_mul_f16_sdwa v14, v14, v18 dst_sel:DWORD dst_unused:UNUSED_PAD src0_sel:DWORD src1_sel:WORD_1
	v_add_lshl_u32 v22, v22, v24, 5
	v_pack_b32_f16 v23, v33, v36
	v_fma_f16 v24, v37, s5, v30
	v_fma_f16 v33, v19, s4, v29
	v_fma_f16 v14, v17, v18, -v14
	ds_read_b32 v17, v8
	ds_read_u16 v18, v9
	ds_read_u16 v34, v9 offset:2
	v_pack_b32_f16 v24, v24, v33
	v_add3_u32 v22, 0, v22, v1
	s_waitcnt lgkmcnt(0)
	s_barrier
	ds_write2_b32 v22, v23, v24 offset1:216
	v_fma_f16 v23, v37, s4, v30
	v_fma_f16 v19, v19, s5, v29
	v_pack_b32_f16 v19, v23, v19
	ds_write_b32 v22, v19 offset:1728
	v_lshrrev_b32_e32 v19, 16, v17
	v_add_f16_e32 v22, v19, v15
	v_sub_f16_e32 v23, v15, v31
	v_add_f16_e32 v15, v15, v31
	v_fma_f16 v15, v15, -0.5, v19
	v_add_f16_e32 v19, v32, v13
	v_fma_f16 v19, v19, -0.5, v17
	v_add_f16_e32 v17, v17, v32
	v_add_f16_e32 v22, v22, v31
	;; [unrolled: 1-line block ×3, first 2 shown]
	v_sub_f16_e32 v13, v32, v13
	v_mul_u32_u24_e32 v24, 0x51, v25
	v_add_lshl_u32 v24, v24, v26, 5
	v_pack_b32_f16 v17, v17, v22
	v_fma_f16 v22, v23, s5, v19
	v_fma_f16 v25, v13, s4, v15
	v_pack_b32_f16 v22, v22, v25
	v_add3_u32 v24, 0, v24, v1
	ds_write2_b32 v24, v17, v22 offset1:216
	v_fma_f16 v17, v23, s4, v19
	v_fma_f16 v13, v13, s5, v15
	v_pack_b32_f16 v13, v17, v13
	ds_write_b32 v24, v13 offset:1728
	v_add_f16_e32 v13, v20, v21
	v_fma_f16 v13, v13, -0.5, v18
	v_sub_f16_e32 v15, v16, v14
	v_fma_f16 v17, v15, s5, v13
	v_fma_f16 v13, v15, s4, v13
	v_add_f16_e32 v15, v34, v16
	v_add_f16_e32 v15, v15, v14
	;; [unrolled: 1-line block ×3, first 2 shown]
	v_fma_f16 v14, v14, -0.5, v34
	v_add_f16_e32 v16, v18, v20
	v_sub_f16_e32 v18, v20, v21
	v_fma_f16 v19, v18, s4, v14
	v_fma_f16 v14, v18, s5, v14
	v_mul_u32_u24_e32 v18, 0x51, v27
	v_add_f16_e32 v16, v16, v21
	v_add_lshl_u32 v18, v18, v28, 5
	v_add3_u32 v1, 0, v18, v1
	v_pack_b32_f16 v15, v16, v15
	v_pack_b32_f16 v16, v17, v19
	;; [unrolled: 1-line block ×3, first 2 shown]
	ds_write2_b32 v1, v15, v16 offset1:216
	ds_write_b32 v1, v13 offset:1728
	v_add_u32_e32 v1, 0xffffffaf, v7
	v_cndmask_b32_e32 v21, v1, v7, vcc
	v_lshlrev_b32_e32 v1, 1, v21
	v_lshlrev_b64 v[13:14], 2, v[1:2]
	v_mov_b32_e32 v17, s9
	v_add_co_u32_e32 v13, vcc, s8, v13
	v_addc_co_u32_e32 v14, vcc, v17, v14, vcc
	s_waitcnt lgkmcnt(0)
	s_barrier
	global_load_dwordx2 v[13:14], v[13:14], off offset:312
	v_subrev_u32_e32 v1, 54, v7
	v_cmp_gt_u32_e32 vcc, s6, v0
	v_cndmask_b32_e32 v1, v1, v6, vcc
	v_lshlrev_b32_e32 v1, 1, v1
	v_lshlrev_b64 v[15:16], 2, v[1:2]
	v_mul_lo_u16_e32 v1, 51, v4
	v_add_co_u32_e32 v15, vcc, s8, v15
	v_addc_co_u32_e32 v16, vcc, v17, v16, vcc
	global_load_dwordx2 v[15:16], v[15:16], off offset:312
	v_lshrrev_b16_e32 v22, 12, v1
	v_mul_lo_u16_e32 v1, 0x51, v22
	v_sub_u16_e32 v1, v4, v1
	v_lshlrev_b16_e32 v1, 1, v1
	v_and_b32_e32 v1, 0xfe, v1
	v_lshlrev_b32_e32 v1, 2, v1
	global_load_dwordx2 v[17:18], v1, s[8:9] offset:312
	ds_read2_b32 v[19:20], v11 offset0:8 offset1:224
	ds_read2_b32 v[11:12], v12 offset0:24 offset1:240
	ds_read_b32 v3, v3
	s_waitcnt lgkmcnt(2)
	v_lshrrev_b32_e32 v1, 16, v19
	s_waitcnt lgkmcnt(0)
	v_lshrrev_b32_e32 v29, 16, v3
	s_waitcnt vmcnt(2)
	v_mul_f16_sdwa v7, v13, v19 dst_sel:DWORD dst_unused:UNUSED_PAD src0_sel:WORD_1 src1_sel:DWORD
	v_fma_f16 v23, v13, v1, -v7
	v_mul_f16_sdwa v1, v13, v1 dst_sel:DWORD dst_unused:UNUSED_PAD src0_sel:WORD_1 src1_sel:DWORD
	v_fma_f16 v19, v13, v19, v1
	v_lshrrev_b32_e32 v1, 16, v12
	v_mul_f16_sdwa v7, v14, v12 dst_sel:DWORD dst_unused:UNUSED_PAD src0_sel:WORD_1 src1_sel:DWORD
	v_fma_f16 v24, v14, v1, -v7
	v_mul_f16_sdwa v1, v14, v1 dst_sel:DWORD dst_unused:UNUSED_PAD src0_sel:WORD_1 src1_sel:DWORD
	v_fma_f16 v14, v14, v12, v1
	ds_read2_b32 v[12:13], v10 offset0:8 offset1:224
	v_lshrrev_b32_e32 v1, 16, v20
	s_waitcnt vmcnt(1)
	v_mul_f16_sdwa v7, v15, v1 dst_sel:DWORD dst_unused:UNUSED_PAD src0_sel:WORD_1 src1_sel:DWORD
	v_fma_f16 v25, v15, v20, v7
	v_mul_f16_sdwa v7, v15, v20 dst_sel:DWORD dst_unused:UNUSED_PAD src0_sel:WORD_1 src1_sel:DWORD
	v_fma_f16 v15, v15, v1, -v7
	s_waitcnt lgkmcnt(0)
	v_lshrrev_b32_e32 v1, 16, v12
	v_mul_f16_sdwa v7, v16, v12 dst_sel:DWORD dst_unused:UNUSED_PAD src0_sel:WORD_1 src1_sel:DWORD
	v_fma_f16 v20, v16, v1, -v7
	v_mul_f16_sdwa v1, v16, v1 dst_sel:DWORD dst_unused:UNUSED_PAD src0_sel:WORD_1 src1_sel:DWORD
	v_fma_f16 v16, v16, v12, v1
	v_lshrrev_b32_e32 v1, 16, v11
	s_waitcnt vmcnt(0)
	v_mul_f16_sdwa v7, v17, v1 dst_sel:DWORD dst_unused:UNUSED_PAD src0_sel:WORD_1 src1_sel:DWORD
	v_fma_f16 v26, v17, v11, v7
	v_mul_f16_sdwa v7, v17, v11 dst_sel:DWORD dst_unused:UNUSED_PAD src0_sel:WORD_1 src1_sel:DWORD
	v_mad_u64_u32 v[10:11], s[8:9], s16, v5, 0
	v_fma_f16 v17, v17, v1, -v7
	v_lshrrev_b32_e32 v7, 16, v13
	v_mov_b32_e32 v1, v11
	v_mul_f16_sdwa v27, v7, v18 dst_sel:DWORD dst_unused:UNUSED_PAD src0_sel:DWORD src1_sel:WORD_1
	v_mad_u64_u32 v[11:12], s[8:9], s17, v5, v[1:2]
	v_mul_f16_sdwa v1, v13, v18 dst_sel:DWORD dst_unused:UNUSED_PAD src0_sel:DWORD src1_sel:WORD_1
	v_mov_b32_e32 v5, s1
	s_movk_i32 s1, 0x287
	v_fma_f16 v12, v13, v18, v27
	v_fma_f16 v13, v7, v18, -v1
	v_mov_b32_e32 v1, 0xf3
	v_cmp_lt_u32_e32 vcc, s1, v0
	v_cndmask_b32_e32 v1, 0, v1, vcc
	v_add_u32_e32 v1, v21, v1
	v_mul_lo_u32 v1, v1, s18
	v_lshlrev_b64 v[10:11], 2, v[10:11]
	v_add_f16_e32 v7, v29, v23
	v_add_co_u32_e32 v18, vcc, s0, v10
	v_addc_co_u32_e32 v21, vcc, v5, v11, vcc
	v_lshlrev_b64 v[10:11], 2, v[1:2]
	v_add_f16_e32 v5, v3, v19
	v_add_co_u32_e32 v10, vcc, v18, v10
	v_add_f16_e32 v5, v5, v14
	v_add_f16_e32 v7, v7, v24
	s_mul_i32 s0, s18, 0x51
	v_addc_co_u32_e32 v11, vcc, v21, v11, vcc
	v_pack_b32_f16 v5, v5, v7
	v_add_u32_e32 v1, s0, v1
	ds_read_b32 v27, v8
	ds_read_u16 v28, v9
	ds_read_u16 v9, v9 offset:2
	global_store_dword v[10:11], v5, off
	v_lshlrev_b64 v[7:8], 2, v[1:2]
	v_add_f16_e32 v5, v19, v14
	v_add_f16_e32 v10, v23, v24
	v_fma_f16 v3, v5, -0.5, v3
	v_sub_f16_e32 v5, v23, v24
	v_fma_f16 v10, v10, -0.5, v29
	v_sub_f16_e32 v11, v19, v14
	v_add_co_u32_e32 v7, vcc, v18, v7
	v_fma_f16 v14, v5, s5, v3
	v_fma_f16 v19, v11, s4, v10
	v_addc_co_u32_e32 v8, vcc, v21, v8, vcc
	v_pack_b32_f16 v14, v14, v19
	v_add_u32_e32 v1, s0, v1
	global_store_dword v[7:8], v14, off
	v_lshlrev_b64 v[7:8], 2, v[1:2]
	s_movk_i32 s1, 0x1af
	v_add_co_u32_e32 v7, vcc, v18, v7
	v_addc_co_u32_e32 v8, vcc, v21, v8, vcc
	v_mov_b32_e32 v1, 0xa2
	v_cmp_lt_u32_e32 vcc, s1, v0
	v_cndmask_b32_e32 v0, 0, v1, vcc
	v_add_u32_e32 v0, v0, v6
	v_fma_f16 v3, v5, s4, v3
	v_mul_lo_u32 v1, v0, s18
	v_fma_f16 v0, v11, s5, v10
	v_pack_b32_f16 v0, v3, v0
	global_store_dword v[7:8], v0, off
	v_add_f16_e32 v0, v25, v16
	s_waitcnt lgkmcnt(2)
	v_fma_f16 v0, v0, -0.5, v27
	v_sub_f16_e32 v3, v15, v20
	v_fma_f16 v7, v3, s5, v0
	v_fma_f16 v0, v3, s4, v0
	v_lshrrev_b32_e32 v3, 16, v27
	v_add_f16_e32 v10, v15, v20
	v_add_f16_e32 v8, v3, v15
	v_fma_f16 v3, v10, -0.5, v3
	v_sub_f16_e32 v11, v25, v16
	v_fma_f16 v14, v11, s4, v3
	v_fma_f16 v11, v11, s5, v3
	v_add_f16_e32 v3, v26, v12
	v_add_f16_e32 v10, v27, v25
	s_waitcnt lgkmcnt(1)
	v_fma_f16 v3, v3, -0.5, v28
	v_sub_f16_e32 v15, v17, v13
	v_add_f16_e32 v10, v10, v16
	v_fma_f16 v16, v15, s5, v3
	v_fma_f16 v15, v15, s4, v3
	s_waitcnt lgkmcnt(0)
	v_add_f16_e32 v3, v9, v17
	v_lshlrev_b64 v[5:6], 2, v[1:2]
	v_add_f16_e32 v19, v3, v13
	v_add_f16_e32 v3, v17, v13
	v_fma_f16 v3, v3, -0.5, v9
	v_add_f16_e32 v9, v28, v26
	v_add_co_u32_e32 v5, vcc, v18, v5
	v_add_f16_e32 v8, v8, v20
	v_add_f16_e32 v9, v9, v12
	v_sub_f16_e32 v12, v26, v12
	v_addc_co_u32_e32 v6, vcc, v21, v6, vcc
	v_fma_f16 v13, v12, s4, v3
	v_fma_f16 v12, v12, s5, v3
	v_pack_b32_f16 v3, v10, v8
	v_add_u32_e32 v1, s0, v1
	global_store_dword v[5:6], v3, off
	v_lshlrev_b64 v[5:6], 2, v[1:2]
	s_movk_i32 s1, 0xa2
	v_add_co_u32_e32 v5, vcc, v18, v5
	v_addc_co_u32_e32 v6, vcc, v21, v6, vcc
	v_pack_b32_f16 v3, v7, v14
	v_add_u32_e32 v1, s0, v1
	global_store_dword v[5:6], v3, off
	v_lshlrev_b64 v[5:6], 2, v[1:2]
	v_mad_u32_u24 v1, v22, s1, v4
	v_mul_lo_u32 v1, v1, s18
	v_add_co_u32_e32 v3, vcc, v18, v5
	v_addc_co_u32_e32 v4, vcc, v21, v6, vcc
	v_pack_b32_f16 v0, v0, v11
	global_store_dword v[3:4], v0, off
	v_lshlrev_b64 v[3:4], 2, v[1:2]
	v_pack_b32_f16 v0, v9, v19
	v_add_co_u32_e32 v3, vcc, v18, v3
	v_addc_co_u32_e32 v4, vcc, v21, v4, vcc
	v_add_u32_e32 v1, s0, v1
	global_store_dword v[3:4], v0, off
	v_lshlrev_b64 v[3:4], 2, v[1:2]
	v_pack_b32_f16 v0, v16, v13
	v_add_co_u32_e32 v3, vcc, v18, v3
	v_addc_co_u32_e32 v4, vcc, v21, v4, vcc
	v_add_u32_e32 v1, s0, v1
	global_store_dword v[3:4], v0, off
	v_lshlrev_b64 v[0:1], 2, v[1:2]
	v_pack_b32_f16 v2, v15, v12
	v_add_co_u32_e32 v0, vcc, v18, v0
	v_addc_co_u32_e32 v1, vcc, v21, v1, vcc
	global_store_dword v[0:1], v2, off
	s_endpgm
	.section	.rodata,"a",@progbits
	.p2align	6, 0x0
	.amdhsa_kernel fft_rtc_back_len243_factors_3_3_3_3_3_wgs_216_tpt_27_half_op_CI_CI_sbrc_aligned_dirReg
		.amdhsa_group_segment_fixed_size 0
		.amdhsa_private_segment_fixed_size 0
		.amdhsa_kernarg_size 104
		.amdhsa_user_sgpr_count 6
		.amdhsa_user_sgpr_private_segment_buffer 1
		.amdhsa_user_sgpr_dispatch_ptr 0
		.amdhsa_user_sgpr_queue_ptr 0
		.amdhsa_user_sgpr_kernarg_segment_ptr 1
		.amdhsa_user_sgpr_dispatch_id 0
		.amdhsa_user_sgpr_flat_scratch_init 0
		.amdhsa_user_sgpr_private_segment_size 0
		.amdhsa_uses_dynamic_stack 0
		.amdhsa_system_sgpr_private_segment_wavefront_offset 0
		.amdhsa_system_sgpr_workgroup_id_x 1
		.amdhsa_system_sgpr_workgroup_id_y 0
		.amdhsa_system_sgpr_workgroup_id_z 0
		.amdhsa_system_sgpr_workgroup_info 0
		.amdhsa_system_vgpr_workitem_id 0
		.amdhsa_next_free_vgpr 40
		.amdhsa_next_free_sgpr 43
		.amdhsa_reserve_vcc 1
		.amdhsa_reserve_flat_scratch 0
		.amdhsa_float_round_mode_32 0
		.amdhsa_float_round_mode_16_64 0
		.amdhsa_float_denorm_mode_32 3
		.amdhsa_float_denorm_mode_16_64 3
		.amdhsa_dx10_clamp 1
		.amdhsa_ieee_mode 1
		.amdhsa_fp16_overflow 0
		.amdhsa_exception_fp_ieee_invalid_op 0
		.amdhsa_exception_fp_denorm_src 0
		.amdhsa_exception_fp_ieee_div_zero 0
		.amdhsa_exception_fp_ieee_overflow 0
		.amdhsa_exception_fp_ieee_underflow 0
		.amdhsa_exception_fp_ieee_inexact 0
		.amdhsa_exception_int_div_zero 0
	.end_amdhsa_kernel
	.text
.Lfunc_end0:
	.size	fft_rtc_back_len243_factors_3_3_3_3_3_wgs_216_tpt_27_half_op_CI_CI_sbrc_aligned_dirReg, .Lfunc_end0-fft_rtc_back_len243_factors_3_3_3_3_3_wgs_216_tpt_27_half_op_CI_CI_sbrc_aligned_dirReg
                                        ; -- End function
	.section	.AMDGPU.csdata,"",@progbits
; Kernel info:
; codeLenInByte = 6664
; NumSgprs: 47
; NumVgprs: 40
; ScratchSize: 0
; MemoryBound: 0
; FloatMode: 240
; IeeeMode: 1
; LDSByteSize: 0 bytes/workgroup (compile time only)
; SGPRBlocks: 5
; VGPRBlocks: 9
; NumSGPRsForWavesPerEU: 47
; NumVGPRsForWavesPerEU: 40
; Occupancy: 6
; WaveLimiterHint : 1
; COMPUTE_PGM_RSRC2:SCRATCH_EN: 0
; COMPUTE_PGM_RSRC2:USER_SGPR: 6
; COMPUTE_PGM_RSRC2:TRAP_HANDLER: 0
; COMPUTE_PGM_RSRC2:TGID_X_EN: 1
; COMPUTE_PGM_RSRC2:TGID_Y_EN: 0
; COMPUTE_PGM_RSRC2:TGID_Z_EN: 0
; COMPUTE_PGM_RSRC2:TIDIG_COMP_CNT: 0
	.type	__hip_cuid_6a73f8c594238a3,@object ; @__hip_cuid_6a73f8c594238a3
	.section	.bss,"aw",@nobits
	.globl	__hip_cuid_6a73f8c594238a3
__hip_cuid_6a73f8c594238a3:
	.byte	0                               ; 0x0
	.size	__hip_cuid_6a73f8c594238a3, 1

	.ident	"AMD clang version 19.0.0git (https://github.com/RadeonOpenCompute/llvm-project roc-6.4.0 25133 c7fe45cf4b819c5991fe208aaa96edf142730f1d)"
	.section	".note.GNU-stack","",@progbits
	.addrsig
	.addrsig_sym __hip_cuid_6a73f8c594238a3
	.amdgpu_metadata
---
amdhsa.kernels:
  - .args:
      - .actual_access:  read_only
        .address_space:  global
        .offset:         0
        .size:           8
        .value_kind:     global_buffer
      - .offset:         8
        .size:           8
        .value_kind:     by_value
      - .actual_access:  read_only
        .address_space:  global
        .offset:         16
        .size:           8
        .value_kind:     global_buffer
      - .actual_access:  read_only
        .address_space:  global
        .offset:         24
        .size:           8
        .value_kind:     global_buffer
      - .actual_access:  read_only
        .address_space:  global
        .offset:         32
        .size:           8
        .value_kind:     global_buffer
      - .offset:         40
        .size:           8
        .value_kind:     by_value
      - .actual_access:  read_only
        .address_space:  global
        .offset:         48
        .size:           8
        .value_kind:     global_buffer
      - .actual_access:  read_only
        .address_space:  global
        .offset:         56
        .size:           8
        .value_kind:     global_buffer
      - .offset:         64
        .size:           4
        .value_kind:     by_value
      - .actual_access:  read_only
        .address_space:  global
        .offset:         72
        .size:           8
        .value_kind:     global_buffer
      - .actual_access:  read_only
        .address_space:  global
        .offset:         80
        .size:           8
        .value_kind:     global_buffer
      - .actual_access:  read_only
        .address_space:  global
        .offset:         88
        .size:           8
        .value_kind:     global_buffer
      - .actual_access:  write_only
        .address_space:  global
        .offset:         96
        .size:           8
        .value_kind:     global_buffer
    .group_segment_fixed_size: 0
    .kernarg_segment_align: 8
    .kernarg_segment_size: 104
    .language:       OpenCL C
    .language_version:
      - 2
      - 0
    .max_flat_workgroup_size: 216
    .name:           fft_rtc_back_len243_factors_3_3_3_3_3_wgs_216_tpt_27_half_op_CI_CI_sbrc_aligned_dirReg
    .private_segment_fixed_size: 0
    .sgpr_count:     47
    .sgpr_spill_count: 0
    .symbol:         fft_rtc_back_len243_factors_3_3_3_3_3_wgs_216_tpt_27_half_op_CI_CI_sbrc_aligned_dirReg.kd
    .uniform_work_group_size: 1
    .uses_dynamic_stack: false
    .vgpr_count:     40
    .vgpr_spill_count: 0
    .wavefront_size: 64
amdhsa.target:   amdgcn-amd-amdhsa--gfx906
amdhsa.version:
  - 1
  - 2
...

	.end_amdgpu_metadata
